;; amdgpu-corpus repo=ROCm/rocFFT kind=compiled arch=gfx906 opt=O3
	.text
	.amdgcn_target "amdgcn-amd-amdhsa--gfx906"
	.amdhsa_code_object_version 6
	.protected	bluestein_single_fwd_len96_dim1_half_op_CI_CI ; -- Begin function bluestein_single_fwd_len96_dim1_half_op_CI_CI
	.globl	bluestein_single_fwd_len96_dim1_half_op_CI_CI
	.p2align	8
	.type	bluestein_single_fwd_len96_dim1_half_op_CI_CI,@function
bluestein_single_fwd_len96_dim1_half_op_CI_CI: ; @bluestein_single_fwd_len96_dim1_half_op_CI_CI
; %bb.0:
	s_load_dwordx4 s[12:15], s[4:5], 0x28
	v_lshrrev_b32_e32 v1, 4, v0
	v_lshl_or_b32 v15, s6, 3, v1
	v_mov_b32_e32 v16, 0
	s_waitcnt lgkmcnt(0)
	v_cmp_gt_u64_e32 vcc, s[12:13], v[15:16]
	s_and_saveexec_b64 s[0:1], vcc
	s_cbranch_execz .LBB0_10
; %bb.1:
	s_load_dwordx4 s[8:11], s[4:5], 0x18
	s_load_dwordx4 s[0:3], s[4:5], 0x0
	v_and_b32_e32 v39, 15, v0
	v_lshlrev_b32_e32 v29, 2, v39
	v_mul_u32_u24_e32 v30, 0x60, v1
	s_waitcnt lgkmcnt(0)
	s_load_dwordx4 s[16:19], s[8:9], 0x0
	global_load_dword v40, v29, s[0:1]
	v_lshl_or_b32 v36, v30, 2, v29
	s_load_dwordx2 s[8:9], s[4:5], 0x38
	v_mov_b32_e32 v9, s1
	s_waitcnt lgkmcnt(0)
	v_mad_u64_u32 v[2:3], s[6:7], s18, v15, 0
	v_mad_u64_u32 v[4:5], s[6:7], s16, v39, 0
	v_mov_b32_e32 v0, v3
                                        ; implicit-def: $vgpr31
                                        ; implicit-def: $vgpr32
                                        ; implicit-def: $vgpr42
                                        ; implicit-def: $vgpr44
                                        ; implicit-def: $vgpr52
                                        ; implicit-def: $vgpr53
                                        ; implicit-def: $vgpr51
                                        ; implicit-def: $vgpr50
                                        ; implicit-def: $vgpr48
                                        ; implicit-def: $vgpr49
                                        ; implicit-def: $vgpr22
                                        ; implicit-def: $vgpr20
                                        ; implicit-def: $vgpr24
                                        ; implicit-def: $vgpr13
                                        ; implicit-def: $vgpr28
	v_mov_b32_e32 v3, v5
	v_mad_u64_u32 v[5:6], s[6:7], s19, v15, v[0:1]
	v_mad_u64_u32 v[6:7], s[6:7], s17, v39, v[3:4]
	v_mov_b32_e32 v3, v5
	v_lshlrev_b64 v[2:3], 2, v[2:3]
	v_mov_b32_e32 v5, v6
	v_mov_b32_e32 v0, s15
	v_lshlrev_b64 v[4:5], 2, v[4:5]
	v_add_co_u32_e32 v2, vcc, s14, v2
	v_addc_co_u32_e32 v0, vcc, v0, v3, vcc
	v_add_co_u32_e32 v2, vcc, v2, v4
	v_addc_co_u32_e32 v3, vcc, v0, v5, vcc
	s_lshl_b64 s[6:7], s[16:17], 6
	global_load_dword v0, v[2:3], off
	v_mov_b32_e32 v4, s7
	v_add_co_u32_e32 v2, vcc, s6, v2
	v_addc_co_u32_e32 v3, vcc, v3, v4, vcc
	global_load_dword v5, v[2:3], off
	global_load_dword v38, v29, s[0:1] offset:64
	v_add_co_u32_e32 v2, vcc, s6, v2
	v_addc_co_u32_e32 v3, vcc, v3, v4, vcc
	global_load_dword v6, v[2:3], off
	global_load_dword v37, v29, s[0:1] offset:128
	;; [unrolled: 4-line block ×5, first 2 shown]
	v_or_b32_e32 v1, v30, v39
	v_lshlrev_b32_e32 v41, 2, v1
	s_load_dwordx4 s[4:7], s[10:11], 0x0
	s_movk_i32 s10, 0x3aee
	s_mov_b32 s11, 0xffff
	v_add_co_u32_e32 v16, vcc, s0, v29
	v_addc_co_u32_e32 v17, vcc, 0, v9, vcc
	v_cmp_gt_u32_e32 vcc, 6, v39
	s_waitcnt vmcnt(10)
	v_lshrrev_b32_e32 v1, 16, v0
	v_mul_f16_sdwa v2, v40, v0 dst_sel:DWORD dst_unused:UNUSED_PAD src0_sel:WORD_1 src1_sel:DWORD
	v_mul_f16_sdwa v3, v40, v1 dst_sel:DWORD dst_unused:UNUSED_PAD src0_sel:WORD_1 src1_sel:DWORD
	v_fma_f16 v1, v40, v1, -v2
	v_fma_f16 v0, v40, v0, v3
	s_waitcnt vmcnt(9)
	v_lshrrev_b32_e32 v2, 16, v5
	s_waitcnt vmcnt(8)
	v_mul_f16_sdwa v10, v38, v5 dst_sel:DWORD dst_unused:UNUSED_PAD src0_sel:WORD_1 src1_sel:DWORD
	v_mul_f16_sdwa v3, v38, v2 dst_sel:DWORD dst_unused:UNUSED_PAD src0_sel:WORD_1 src1_sel:DWORD
	v_fma_f16 v2, v38, v2, -v10
	v_pack_b32_f16 v0, v0, v1
	s_waitcnt vmcnt(7)
	v_lshrrev_b32_e32 v10, 16, v6
	s_waitcnt vmcnt(6)
	v_mul_f16_sdwa v11, v37, v6 dst_sel:DWORD dst_unused:UNUSED_PAD src0_sel:WORD_1 src1_sel:DWORD
	v_fma_f16 v1, v38, v5, v3
	v_mul_f16_sdwa v3, v37, v10 dst_sel:DWORD dst_unused:UNUSED_PAD src0_sel:WORD_1 src1_sel:DWORD
	v_fma_f16 v5, v37, v10, -v11
	s_waitcnt vmcnt(5)
	v_lshrrev_b32_e32 v10, 16, v7
	s_waitcnt vmcnt(4)
	v_mul_f16_sdwa v11, v35, v7 dst_sel:DWORD dst_unused:UNUSED_PAD src0_sel:WORD_1 src1_sel:DWORD
	v_pack_b32_f16 v1, v1, v2
	v_fma_f16 v2, v37, v6, v3
	v_mul_f16_sdwa v3, v35, v10 dst_sel:DWORD dst_unused:UNUSED_PAD src0_sel:WORD_1 src1_sel:DWORD
	v_fma_f16 v6, v35, v10, -v11
	s_waitcnt vmcnt(3)
	v_lshrrev_b32_e32 v10, 16, v8
	ds_write2_b32 v41, v0, v1 offset1:16
	v_pack_b32_f16 v0, v2, v5
	v_fma_f16 v1, v35, v7, v3
	s_waitcnt vmcnt(1)
	v_lshrrev_b32_e32 v5, 16, v4
	v_mul_f16_sdwa v11, v34, v8 dst_sel:DWORD dst_unused:UNUSED_PAD src0_sel:WORD_1 src1_sel:DWORD
	v_mul_f16_sdwa v2, v34, v10 dst_sel:DWORD dst_unused:UNUSED_PAD src0_sel:WORD_1 src1_sel:DWORD
	s_waitcnt vmcnt(0)
	v_mul_f16_sdwa v7, v33, v4 dst_sel:DWORD dst_unused:UNUSED_PAD src0_sel:WORD_1 src1_sel:DWORD
	v_pack_b32_f16 v1, v1, v6
	v_mul_f16_sdwa v6, v33, v5 dst_sel:DWORD dst_unused:UNUSED_PAD src0_sel:WORD_1 src1_sel:DWORD
	v_fma_f16 v3, v34, v10, -v11
	v_fma_f16 v2, v34, v8, v2
	v_fma_f16 v5, v33, v5, -v7
	ds_write2_b32 v36, v0, v1 offset0:32 offset1:48
	v_fma_f16 v1, v33, v4, v6
	v_pack_b32_f16 v0, v2, v3
	v_pack_b32_f16 v1, v1, v5
	ds_write2_b32 v36, v0, v1 offset0:64 offset1:80
	s_waitcnt lgkmcnt(0)
	s_barrier
	ds_read2_b32 v[0:1], v41 offset1:16
	ds_read2_b32 v[2:3], v36 offset0:32 offset1:48
	ds_read2_b32 v[4:5], v36 offset0:64 offset1:80
	s_waitcnt lgkmcnt(0)
	s_barrier
	v_pk_add_f16 v6, v0, v2
	v_pk_add_f16 v7, v1, v3
	;; [unrolled: 1-line block ×5, first 2 shown]
	v_pk_add_f16 v26, v6, v7 neg_lo:[0,1] neg_hi:[0,1]
	v_pk_add_f16 v6, v2, v4
	v_pk_add_f16 v2, v2, v4 neg_lo:[0,1] neg_hi:[0,1]
	v_pk_fma_f16 v0, v6, 0.5, v0 op_sel_hi:[1,0,1] neg_lo:[1,0,0] neg_hi:[1,0,0]
	v_pk_mul_f16 v2, v2, s10 op_sel_hi:[1,0]
	v_pk_add_f16 v4, v0, v2 op_sel:[0,1] op_sel_hi:[1,0]
	v_pk_add_f16 v0, v0, v2 op_sel:[0,1] op_sel_hi:[1,0] neg_lo:[0,1] neg_hi:[0,1]
	v_pk_add_f16 v2, v3, v5
	v_pk_fma_f16 v1, v2, 0.5, v1 op_sel_hi:[1,0,1] neg_lo:[1,0,0] neg_hi:[1,0,0]
	v_pk_add_f16 v3, v3, v5 neg_lo:[0,1] neg_hi:[0,1]
	v_pk_fma_f16 v5, v3, s10, v1 op_sel:[0,0,1] op_sel_hi:[1,0,0]
	v_pk_fma_f16 v1, v3, s10, v1 op_sel:[0,0,1] op_sel_hi:[1,0,0] neg_lo:[1,0,0] neg_hi:[1,0,0]
	v_lshrrev_b32_e32 v6, 16, v5
	v_bfi_b32 v3, s11, v5, v1
	v_mul_f16_e32 v5, 0x3aee, v1
	v_fma_f16 v5, v6, 0.5, v5
	s_mov_b32 s10, 0xbaee3aee
	v_pk_mul_f16 v7, v3, 0.5 op_sel_hi:[1,0]
	v_mul_f16_e32 v6, 0xbaee, v6
	v_pk_fma_f16 v3, v3, s10, v7 op_sel:[0,0,1] op_sel_hi:[1,1,0] neg_lo:[0,0,1] neg_hi:[0,0,1]
	v_fma_f16 v1, v1, 0.5, v6
	v_sub_f16_sdwa v45, v0, v1 dst_sel:DWORD dst_unused:UNUSED_PAD src0_sel:WORD_1 src1_sel:DWORD
	v_pack_b32_f16 v1, v1, v3
	v_bfi_b32 v2, s11, v0, v4
	v_add_f16_e32 v8, v4, v5
	v_pk_add_f16 v46, v0, v1 op_sel:[1,0] op_sel_hi:[0,1]
	v_add_f16_sdwa v47, v4, v3 dst_sel:DWORD dst_unused:UNUSED_PAD src0_sel:WORD_1 src1_sel:WORD_1
	v_mul_u32_u24_e32 v0, 6, v39
	v_sub_f16_e32 v9, v4, v5
	v_add_lshl_u32 v43, v30, v0, 2
	v_alignbit_b32 v25, v47, v46, 16
	v_pack_b32_f16 v19, v8, v46
	v_pk_add_f16 v11, v2, v3 neg_lo:[0,1] neg_hi:[0,1]
	ds_write2_b64 v43, v[18:19], v[25:26] offset1:1
	v_pack_b32_f16 v10, v9, v45
	v_lshrrev_b32_e32 v25, 16, v46
	ds_write_b64 v43, v[10:11] offset:16
	s_waitcnt lgkmcnt(0)
	s_barrier
	s_and_saveexec_b64 s[10:11], vcc
	s_cbranch_execz .LBB0_3
; %bb.2:
	ds_read2_b32 v[7:8], v41 offset1:6
	ds_read2_b32 v[25:26], v41 offset0:12 offset1:18
	ds_read2_b32 v[9:10], v41 offset0:24 offset1:30
	;; [unrolled: 1-line block ×7, first 2 shown]
	s_waitcnt lgkmcnt(7)
	v_lshrrev_b32_e32 v46, 16, v8
	s_waitcnt lgkmcnt(6)
	v_lshrrev_b32_e32 v47, 16, v25
	;; [unrolled: 2-line block ×4, first 2 shown]
	v_lshrrev_b32_e32 v48, 16, v28
	s_waitcnt lgkmcnt(3)
	v_lshrrev_b32_e32 v50, 16, v12
	v_lshrrev_b32_e32 v51, 16, v13
	s_waitcnt lgkmcnt(2)
	v_lshrrev_b32_e32 v53, 16, v23
	;; [unrolled: 3-line block ×4, first 2 shown]
	v_lshrrev_b32_e32 v31, 16, v22
	v_mov_b32_e32 v18, v7
	v_mov_b32_e32 v11, v10
.LBB0_3:
	s_or_b64 exec, exec, s[10:11]
	v_mul_lo_u16_e32 v0, 43, v39
	v_mov_b32_e32 v1, 6
	v_mul_lo_u16_sdwa v0, v0, v1 dst_sel:DWORD dst_unused:UNUSED_PAD src0_sel:BYTE_1 src1_sel:DWORD
	v_sub_u16_e32 v0, v39, v0
	v_mul_lo_u16_e32 v0, 15, v0
	v_mov_b32_e32 v1, 2
	v_lshlrev_b32_sdwa v14, v1, v0 dst_sel:DWORD dst_unused:UNUSED_PAD src0_sel:DWORD src1_sel:BYTE_0
	global_load_dwordx4 v[0:3], v14, s[2:3]
	global_load_dwordx4 v[4:7], v14, s[2:3] offset:16
	v_lshrrev_b32_e32 v54, 16, v26
	v_lshrrev_b32_e32 v55, 16, v11
	s_mov_b32 s10, 0xbb64
	s_movk_i32 s11, 0x361f
	s_mov_b32 s12, 0xb61f
	s_movk_i32 s13, 0x3b64
	s_waitcnt vmcnt(1)
	v_mul_f16_sdwa v10, v46, v0 dst_sel:DWORD dst_unused:UNUSED_PAD src0_sel:DWORD src1_sel:WORD_1
	v_mul_f16_sdwa v56, v8, v0 dst_sel:DWORD dst_unused:UNUSED_PAD src0_sel:DWORD src1_sel:WORD_1
	;; [unrolled: 1-line block ×3, first 2 shown]
	v_fma_f16 v61, v8, v0, -v10
	v_mul_f16_sdwa v8, v45, v3 dst_sel:DWORD dst_unused:UNUSED_PAD src0_sel:DWORD src1_sel:WORD_1
	v_mul_f16_sdwa v57, v47, v1 dst_sel:DWORD dst_unused:UNUSED_PAD src0_sel:DWORD src1_sel:WORD_1
	;; [unrolled: 1-line block ×3, first 2 shown]
	s_waitcnt vmcnt(0)
	v_mul_f16_sdwa v10, v55, v4 dst_sel:DWORD dst_unused:UNUSED_PAD src0_sel:DWORD src1_sel:WORD_1
	v_fma_f16 v59, v26, v2, -v59
	v_mul_f16_sdwa v26, v49, v5 dst_sel:DWORD dst_unused:UNUSED_PAD src0_sel:DWORD src1_sel:WORD_1
	v_fma_f16 v64, v9, v3, -v8
	v_mul_f16_sdwa v8, v50, v7 dst_sel:DWORD dst_unused:UNUSED_PAD src0_sel:DWORD src1_sel:WORD_1
	v_mul_f16_sdwa v58, v25, v1 dst_sel:DWORD dst_unused:UNUSED_PAD src0_sel:DWORD src1_sel:WORD_1
	;; [unrolled: 1-line block ×3, first 2 shown]
	v_fma_f16 v25, v25, v1, -v57
	v_mul_f16_sdwa v57, v11, v4 dst_sel:DWORD dst_unused:UNUSED_PAD src0_sel:DWORD src1_sel:WORD_1
	v_mul_f16_sdwa v65, v27, v5 dst_sel:DWORD dst_unused:UNUSED_PAD src0_sel:DWORD src1_sel:WORD_1
	v_fma_f16 v67, v11, v4, -v10
	v_fma_f16 v26, v27, v5, -v26
	v_fma_f16 v27, v12, v7, -v8
	global_load_dwordx4 v[8:11], v14, s[2:3] offset:32
	v_mul_f16_sdwa v68, v12, v7 dst_sel:DWORD dst_unused:UNUSED_PAD src0_sel:DWORD src1_sel:WORD_1
	v_mul_f16_sdwa v63, v48, v6 dst_sel:DWORD dst_unused:UNUSED_PAD src0_sel:DWORD src1_sel:WORD_1
	;; [unrolled: 1-line block ×3, first 2 shown]
	v_fma_f16 v28, v28, v6, -v63
	v_fma_f16 v45, v45, v3, v62
	v_fma_f16 v49, v49, v5, v65
	;; [unrolled: 1-line block ×4, first 2 shown]
	v_sub_f16_e32 v27, v18, v27
	v_fma_f16 v46, v46, v0, v56
	v_fma_f16 v55, v55, v4, v57
	;; [unrolled: 1-line block ×4, first 2 shown]
	s_waitcnt vmcnt(0)
	v_mul_f16_sdwa v12, v53, v9 dst_sel:DWORD dst_unused:UNUSED_PAD src0_sel:DWORD src1_sel:WORD_1
	v_fma_f16 v70, v23, v9, -v12
	v_mul_f16_sdwa v12, v52, v10 dst_sel:DWORD dst_unused:UNUSED_PAD src0_sel:DWORD src1_sel:WORD_1
	v_mul_f16_sdwa v63, v51, v8 dst_sel:DWORD dst_unused:UNUSED_PAD src0_sel:DWORD src1_sel:WORD_1
	v_fma_f16 v71, v24, v10, -v12
	v_mul_f16_sdwa v12, v44, v11 dst_sel:DWORD dst_unused:UNUSED_PAD src0_sel:DWORD src1_sel:WORD_1
	v_fma_f16 v63, v13, v8, -v63
	v_mul_f16_sdwa v69, v13, v8 dst_sel:DWORD dst_unused:UNUSED_PAD src0_sel:DWORD src1_sel:WORD_1
	v_fma_f16 v72, v19, v11, -v12
	global_load_dwordx3 v[12:14], v14, s[2:3] offset:48
	v_mul_f16_sdwa v19, v19, v11 dst_sel:DWORD dst_unused:UNUSED_PAD src0_sel:DWORD src1_sel:WORD_1
	v_mul_f16_sdwa v23, v23, v9 dst_sel:DWORD dst_unused:UNUSED_PAD src0_sel:DWORD src1_sel:WORD_1
	;; [unrolled: 1-line block ×3, first 2 shown]
	v_fma_f16 v19, v44, v11, v19
	v_fma_f16 v23, v53, v9, v23
	;; [unrolled: 1-line block ×3, first 2 shown]
	v_lshrrev_b32_e32 v52, 16, v18
	v_sub_f16_e32 v19, v45, v19
	v_sub_f16_e32 v23, v47, v23
	;; [unrolled: 1-line block ×3, first 2 shown]
	v_fma_f16 v18, v18, 2.0, -v27
	v_fma_f16 v45, v45, 2.0, -v19
	;; [unrolled: 1-line block ×3, first 2 shown]
	s_mov_b32 s2, 0xb9a8
	v_fma_f16 v47, v47, 2.0, -v23
	s_movk_i32 s3, 0x39a8
	v_fma_f16 v51, v51, v8, v69
	v_sub_f16_e32 v58, v59, v71
	v_sub_f16_e32 v24, v54, v24
	v_fma_f16 v59, v59, 2.0, -v58
	v_fma_f16 v54, v54, 2.0, -v24
	s_waitcnt vmcnt(0)
	v_mul_f16_sdwa v74, v32, v13 dst_sel:DWORD dst_unused:UNUSED_PAD src0_sel:DWORD src1_sel:WORD_1
	v_mul_f16_sdwa v73, v42, v12 dst_sel:DWORD dst_unused:UNUSED_PAD src0_sel:DWORD src1_sel:WORD_1
	v_fma_f16 v74, v21, v13, -v74
	v_mul_f16_sdwa v21, v21, v13 dst_sel:DWORD dst_unused:UNUSED_PAD src0_sel:DWORD src1_sel:WORD_1
	v_fma_f16 v73, v20, v12, -v73
	v_mul_f16_sdwa v20, v20, v12 dst_sel:DWORD dst_unused:UNUSED_PAD src0_sel:DWORD src1_sel:WORD_1
	v_mul_f16_sdwa v75, v31, v14 dst_sel:DWORD dst_unused:UNUSED_PAD src0_sel:DWORD src1_sel:WORD_1
	v_fma_f16 v21, v32, v13, v21
	v_fma_f16 v75, v22, v14, -v75
	v_mul_f16_sdwa v22, v22, v14 dst_sel:DWORD dst_unused:UNUSED_PAD src0_sel:DWORD src1_sel:WORD_1
	v_fma_f16 v20, v42, v12, v20
	v_sub_f16_e32 v42, v25, v70
	v_sub_f16_e32 v21, v49, v21
	v_fma_f16 v22, v31, v14, v22
	v_sub_f16_e32 v31, v52, v50
	v_sub_f16_e32 v32, v64, v72
	;; [unrolled: 1-line block ×3, first 2 shown]
	v_fma_f16 v49, v49, 2.0, -v21
	v_sub_f16_e32 v21, v42, v21
	v_fma_f16 v50, v52, 2.0, -v31
	v_fma_f16 v52, v64, 2.0, -v32
	v_add_f16_e32 v57, v31, v32
	v_add_f16_e32 v32, v23, v44
	v_fma_f16 v27, v42, 2.0, -v21
	v_fma_f16 v53, v26, 2.0, -v44
	;; [unrolled: 1-line block ×4, first 2 shown]
	v_fma_f16 v26, v27, s2, v19
	v_fma_f16 v26, v23, s2, v26
	;; [unrolled: 1-line block ×8, first 2 shown]
	v_sub_f16_e32 v32, v46, v51
	v_sub_f16_e32 v21, v61, v63
	v_fma_f16 v44, v46, 2.0, -v32
	v_sub_f16_e32 v46, v67, v73
	v_sub_f16_e32 v20, v55, v20
	;; [unrolled: 1-line block ×3, first 2 shown]
	v_fma_f16 v51, v67, 2.0, -v46
	v_fma_f16 v55, v55, 2.0, -v20
	v_sub_f16_e32 v60, v28, v75
	v_fma_f16 v48, v48, 2.0, -v22
	v_sub_f16_e32 v20, v21, v20
	v_add_f16_e32 v46, v32, v46
	v_sub_f16_e32 v22, v58, v22
	v_fma_f16 v25, v25, 2.0, -v42
	v_fma_f16 v42, v61, 2.0, -v21
	;; [unrolled: 1-line block ×4, first 2 shown]
	v_add_f16_e32 v32, v24, v60
	v_fma_f16 v58, v58, 2.0, -v22
	v_fma_f16 v28, v28, 2.0, -v60
	;; [unrolled: 1-line block ×3, first 2 shown]
	v_fma_f16 v60, v58, s2, v21
	v_fma_f16 v60, v24, s2, v60
	;; [unrolled: 1-line block ×8, first 2 shown]
	v_sub_f16_e32 v32, v18, v52
	v_fma_f16 v64, v18, 2.0, -v32
	v_sub_f16_e32 v18, v47, v49
	v_fma_f16 v49, v47, 2.0, -v18
	v_sub_f16_e32 v47, v42, v51
	v_sub_f16_e32 v51, v44, v55
	v_fma_f16 v65, v42, 2.0, -v47
	v_sub_f16_e32 v42, v59, v28
	v_fma_f16 v28, v19, 2.0, -v26
	v_fma_f16 v31, v31, 2.0, -v27
	;; [unrolled: 1-line block ×4, first 2 shown]
	v_sub_f16_e32 v44, v54, v48
	v_fma_f16 v48, v59, 2.0, -v42
	v_sub_f16_e32 v59, v32, v18
	v_fma_f16 v18, v21, 2.0, -v60
	v_add_f16_e32 v61, v51, v42
	v_fma_f16 v42, v19, s10, v31
	v_fma_f16 v54, v54, 2.0, -v44
	v_sub_f16_e32 v55, v47, v44
	v_fma_f16 v44, v18, s11, v42
	v_sub_f16_e32 v42, v50, v45
	v_fma_f16 v45, v50, 2.0, -v42
	v_sub_f16_e32 v50, v25, v53
	v_fma_f16 v25, v25, 2.0, -v50
	;; [unrolled: 2-line block ×3, first 2 shown]
	v_fma_f16 v25, v46, 2.0, -v22
	v_fma_f16 v32, v32, 2.0, -v59
	;; [unrolled: 1-line block ×3, first 2 shown]
	v_fma_f16 v18, v18, s10, v28
	v_add_f16_e32 v50, v42, v50
	v_fma_f16 v56, v56, 2.0, -v23
	v_fma_f16 v20, v20, 2.0, -v63
	v_fma_f16 v46, v25, s12, v57
	v_fma_f16 v47, v51, 2.0, -v61
	v_fma_f16 v18, v19, s12, v18
	v_fma_f16 v19, v21, s2, v32
	v_fma_f16 v42, v42, 2.0, -v50
	v_fma_f16 v46, v20, s13, v46
	v_fma_f16 v20, v20, s12, v56
	;; [unrolled: 1-line block ×14, first 2 shown]
	v_sub_f16_e32 v21, v52, v54
	v_fma_f16 v25, v61, s2, v25
	v_fma_f16 v51, v22, s12, v51
	v_fma_f16 v22, v22, s13, v62
	v_sub_f16_e32 v61, v45, v49
	v_sub_f16_e32 v49, v65, v48
	v_fma_f16 v54, v52, 2.0, -v21
	v_fma_f16 v52, v63, s11, v22
	v_fma_f16 v22, v59, 2.0, -v25
	v_fma_f16 v59, v64, 2.0, -v58
	;; [unrolled: 1-line block ×4, first 2 shown]
	v_sub_f16_e32 v21, v58, v21
	v_fma_f16 v23, v23, 2.0, -v51
	v_sub_f16_e32 v45, v59, v45
	v_sub_f16_e32 v48, v60, v54
	v_add_f16_e32 v49, v61, v49
	v_fma_f16 v54, v50, 2.0, -v55
	v_fma_f16 v50, v62, 2.0, -v52
	s_and_saveexec_b64 s[2:3], vcc
	s_cbranch_execz .LBB0_5
; %bb.4:
	v_fma_f16 v28, v28, 2.0, -v18
	v_fma_f16 v31, v31, 2.0, -v44
	;; [unrolled: 1-line block ×8, first 2 shown]
	v_pack_b32_f16 v59, v59, v60
	v_pack_b32_f16 v28, v28, v31
	v_fma_f16 v26, v26, 2.0, -v24
	v_fma_f16 v27, v27, 2.0, -v47
	;; [unrolled: 1-line block ×4, first 2 shown]
	ds_write2_b32 v41, v59, v28 offset1:6
	v_pack_b32_f16 v28, v32, v42
	v_pack_b32_f16 v31, v56, v57
	s_mov_b32 s10, 0x5040100
	ds_write2_b32 v41, v28, v31 offset0:12 offset1:18
	v_pack_b32_f16 v28, v58, v61
	v_pack_b32_f16 v26, v26, v27
	v_perm_b32 v27, v54, v22, s10
	ds_write_b32 v41, v28 offset:96
	ds_write2_b32 v36, v26, v27 offset0:30 offset1:36
	v_perm_b32 v26, v50, v23, s10
	v_perm_b32 v27, v48, v45, s10
	ds_write2_b32 v36, v26, v27 offset0:42 offset1:48
	v_perm_b32 v26, v44, v18, s10
	v_perm_b32 v27, v53, v19, s10
	;; [unrolled: 3-line block ×4, first 2 shown]
	ds_write2_b32 v36, v26, v27 offset0:78 offset1:84
	v_perm_b32 v26, v52, v51, s10
	ds_write_b32 v36, v26 offset:360
.LBB0_5:
	s_or_b64 exec, exec, s[2:3]
	s_waitcnt lgkmcnt(0)
	s_barrier
	global_load_dword v26, v[16:17], off offset:384
	s_add_u32 s0, s0, 0x180
	s_addc_u32 s1, s1, 0
	global_load_dword v27, v29, s[0:1] offset:64
	global_load_dword v28, v29, s[0:1] offset:128
	;; [unrolled: 1-line block ×5, first 2 shown]
	ds_read2_b32 v[16:17], v41 offset1:16
	v_lshl_add_u32 v42, v30, 2, v29
	s_movk_i32 s0, 0x3aee
	s_mov_b32 s1, 0xb8003800
	s_mov_b32 s2, 0xffff
	s_waitcnt lgkmcnt(0)
	v_lshrrev_b32_e32 v29, 16, v16
	v_lshrrev_b32_e32 v30, 16, v17
	s_waitcnt vmcnt(5)
	v_mul_f16_sdwa v57, v29, v26 dst_sel:DWORD dst_unused:UNUSED_PAD src0_sel:DWORD src1_sel:WORD_1
	v_mul_f16_sdwa v58, v16, v26 dst_sel:DWORD dst_unused:UNUSED_PAD src0_sel:DWORD src1_sel:WORD_1
	v_fma_f16 v16, v16, v26, -v57
	v_fma_f16 v26, v29, v26, v58
	v_pack_b32_f16 v16, v16, v26
	s_waitcnt vmcnt(4)
	v_mul_f16_sdwa v26, v30, v27 dst_sel:DWORD dst_unused:UNUSED_PAD src0_sel:DWORD src1_sel:WORD_1
	v_mul_f16_sdwa v29, v17, v27 dst_sel:DWORD dst_unused:UNUSED_PAD src0_sel:DWORD src1_sel:WORD_1
	v_fma_f16 v17, v17, v27, -v26
	v_fma_f16 v26, v30, v27, v29
	v_pack_b32_f16 v17, v17, v26
	ds_write2_b32 v41, v16, v17 offset1:16
	ds_read2_b32 v[16:17], v36 offset0:32 offset1:64
	ds_read_b32 v26, v42 offset:192
	ds_read_b32 v27, v36 offset:320
	s_waitcnt lgkmcnt(2)
	v_lshrrev_b32_e32 v29, 16, v16
	s_waitcnt vmcnt(3)
	v_mul_f16_sdwa v30, v16, v28 dst_sel:DWORD dst_unused:UNUSED_PAD src0_sel:DWORD src1_sel:WORD_1
	s_waitcnt lgkmcnt(1)
	v_lshrrev_b32_e32 v57, 16, v26
	s_waitcnt vmcnt(2)
	v_mul_f16_sdwa v58, v26, v31 dst_sel:DWORD dst_unused:UNUSED_PAD src0_sel:DWORD src1_sel:WORD_1
	v_lshrrev_b32_e32 v59, 16, v17
	s_waitcnt vmcnt(1)
	v_mul_f16_sdwa v60, v17, v32 dst_sel:DWORD dst_unused:UNUSED_PAD src0_sel:DWORD src1_sel:WORD_1
	s_waitcnt lgkmcnt(0)
	v_lshrrev_b32_e32 v61, 16, v27
	s_waitcnt vmcnt(0)
	v_mul_f16_sdwa v62, v27, v56 dst_sel:DWORD dst_unused:UNUSED_PAD src0_sel:DWORD src1_sel:WORD_1
	v_mul_f16_sdwa v63, v29, v28 dst_sel:DWORD dst_unused:UNUSED_PAD src0_sel:DWORD src1_sel:WORD_1
	v_fma_f16 v29, v29, v28, v30
	v_mul_f16_sdwa v30, v57, v31 dst_sel:DWORD dst_unused:UNUSED_PAD src0_sel:DWORD src1_sel:WORD_1
	v_fma_f16 v57, v57, v31, v58
	;; [unrolled: 2-line block ×4, first 2 shown]
	v_fma_f16 v16, v16, v28, -v63
	v_fma_f16 v26, v26, v31, -v30
	;; [unrolled: 1-line block ×4, first 2 shown]
	v_pack_b32_f16 v16, v16, v29
	v_pack_b32_f16 v26, v26, v57
	;; [unrolled: 1-line block ×4, first 2 shown]
	ds_write_b32 v42, v26 offset:192
	ds_write2_b32 v36, v16, v17 offset0:32 offset1:64
	ds_write_b32 v36, v27 offset:320
	s_waitcnt lgkmcnt(0)
	s_barrier
	ds_read2_b32 v[16:17], v41 offset1:16
	ds_read2_b32 v[26:27], v36 offset0:32 offset1:64
	ds_read_b32 v28, v42 offset:192
	ds_read_b32 v29, v36 offset:320
	s_waitcnt lgkmcnt(0)
	s_barrier
	v_pk_add_f16 v30, v16, v26
	v_pk_add_f16 v31, v17, v28
	;; [unrolled: 1-line block ×4, first 2 shown]
	v_pk_add_f16 v26, v26, v27 neg_lo:[0,1] neg_hi:[0,1]
	v_pk_add_f16 v57, v28, v29 neg_lo:[0,1] neg_hi:[0,1]
	v_pk_add_f16 v27, v30, v27
	v_pk_add_f16 v29, v31, v29
	v_pk_fma_f16 v16, v32, 0.5, v16 op_sel_hi:[1,0,1] neg_lo:[1,0,0] neg_hi:[1,0,0]
	v_pk_fma_f16 v17, v56, 0.5, v17 op_sel_hi:[1,0,1] neg_lo:[1,0,0] neg_hi:[1,0,0]
	v_pk_add_f16 v28, v27, v29
	v_pk_add_f16 v32, v27, v29 neg_lo:[0,1] neg_hi:[0,1]
	v_pk_fma_f16 v29, v26, s0, v16 op_sel:[0,0,1] op_sel_hi:[1,0,0] neg_lo:[1,0,0] neg_hi:[1,0,0]
	v_pk_fma_f16 v16, v26, s0, v16 op_sel:[0,0,1] op_sel_hi:[1,0,0]
	v_pk_fma_f16 v26, v57, s0, v17 op_sel:[0,0,1] op_sel_hi:[1,0,0]
	v_pk_fma_f16 v17, v57, s0, v17 op_sel:[0,0,1] op_sel_hi:[1,0,0] neg_lo:[1,0,0] neg_hi:[1,0,0]
	v_pk_mul_f16 v31, v17, s0 op_sel_hi:[1,0]
	v_lshrrev_b32_e32 v27, 16, v17
	v_mul_f16_e32 v30, 0x3aee, v26
	v_lshrrev_b32_e32 v56, 16, v26
	v_mul_f16_e32 v17, -0.5, v17
	v_pk_fma_f16 v57, v26, s1, v31 op_sel:[0,0,1] op_sel_hi:[1,1,0]
	v_pk_fma_f16 v26, v26, s1, v31 op_sel:[0,0,1] op_sel_hi:[1,1,0] neg_lo:[0,0,1] neg_hi:[0,0,1]
	v_fma_f16 v30, v27, 0.5, -v30
	v_fma_f16 v17, v56, s0, v17
	v_bfi_b32 v31, s2, v57, v26
	v_alignbit_b32 v59, v16, v29, 16
	v_alignbit_b32 v60, v29, v16, 16
	v_add_f16_sdwa v27, v29, v30 dst_sel:DWORD dst_unused:UNUSED_PAD src0_sel:WORD_1 src1_sel:DWORD
	v_add_f16_e32 v58, v29, v17
	v_pack_b32_f16 v29, v30, v57
	v_alignbit_b32 v17, v17, v26, 16
	v_pk_add_f16 v57, v16, v31
	v_pk_add_f16 v16, v59, v29 neg_lo:[0,1] neg_hi:[0,1]
	v_pk_add_f16 v17, v60, v17 neg_lo:[0,1] neg_hi:[0,1]
	v_alignbit_b32 v31, v58, v57, 16
	v_pack_b32_f16 v29, v27, v57
	v_lshrrev_b32_e32 v30, 16, v57
	v_lshrrev_b32_e32 v56, 16, v16
	ds_write2_b64 v43, v[28:29], v[31:32] offset1:1
	v_lshrrev_b32_e32 v29, 16, v17
	ds_write_b64 v43, v[16:17] offset:16
	s_waitcnt lgkmcnt(0)
	s_barrier
	s_and_saveexec_b64 s[0:1], vcc
	s_cbranch_execz .LBB0_7
; %bb.6:
	ds_read2_b32 v[26:27], v41 offset1:6
	ds_read2_b32 v[30:31], v41 offset0:12 offset1:18
	ds_read2_b32 v[16:17], v41 offset0:24 offset1:30
	;; [unrolled: 1-line block ×3, first 2 shown]
	ds_read_b32 v45, v42 offset:192
	ds_read2_b32 v[18:19], v41 offset0:54 offset1:60
	ds_read2_b32 v[20:21], v41 offset0:66 offset1:72
	ds_read_b32 v51, v41 offset:360
	ds_read2_b32 v[24:25], v41 offset0:78 offset1:84
	s_waitcnt lgkmcnt(8)
	v_lshrrev_b32_e32 v57, 16, v27
	s_waitcnt lgkmcnt(7)
	v_lshrrev_b32_e32 v58, 16, v30
	;; [unrolled: 2-line block ×3, first 2 shown]
	v_lshrrev_b32_e32 v29, 16, v17
	s_waitcnt lgkmcnt(5)
	v_lshrrev_b32_e32 v54, 16, v22
	v_lshrrev_b32_e32 v50, 16, v23
	s_waitcnt lgkmcnt(4)
	v_lshrrev_b32_e32 v48, 16, v45
	s_waitcnt lgkmcnt(3)
	v_lshrrev_b32_e32 v44, 16, v18
	v_lshrrev_b32_e32 v53, 16, v19
	s_waitcnt lgkmcnt(2)
	v_lshrrev_b32_e32 v46, 16, v20
	;; [unrolled: 3-line block ×3, first 2 shown]
	v_lshrrev_b32_e32 v55, 16, v25
	v_lshrrev_b32_e32 v52, 16, v51
	v_mov_b32_e32 v28, v26
	v_mov_b32_e32 v32, v31
.LBB0_7:
	s_or_b64 exec, exec, s[0:1]
	s_and_saveexec_b64 s[0:1], vcc
	s_cbranch_execz .LBB0_9
; %bb.8:
	v_mul_f16_sdwa v43, v5, v54 dst_sel:DWORD dst_unused:UNUSED_PAD src0_sel:WORD_1 src1_sel:DWORD
	v_fma_f16 v43, v5, v22, v43
	v_mul_f16_sdwa v22, v5, v22 dst_sel:DWORD dst_unused:UNUSED_PAD src0_sel:WORD_1 src1_sel:DWORD
	v_mul_f16_sdwa v62, v6, v50 dst_sel:DWORD dst_unused:UNUSED_PAD src0_sel:WORD_1 src1_sel:DWORD
	;; [unrolled: 1-line block ×3, first 2 shown]
	v_fma_f16 v5, v5, v54, -v22
	v_mul_f16_sdwa v22, v13, v25 dst_sel:DWORD dst_unused:UNUSED_PAD src0_sel:WORD_1 src1_sel:DWORD
	v_fma_f16 v62, v6, v23, v62
	v_mul_f16_sdwa v67, v4, v29 dst_sel:DWORD dst_unused:UNUSED_PAD src0_sel:WORD_1 src1_sel:DWORD
	v_mul_f16_sdwa v23, v6, v23 dst_sel:DWORD dst_unused:UNUSED_PAD src0_sel:WORD_1 src1_sel:DWORD
	;; [unrolled: 1-line block ×3, first 2 shown]
	v_fma_f16 v59, v13, v25, v59
	v_fma_f16 v13, v13, v55, -v22
	v_mul_f16_sdwa v22, v1, v58 dst_sel:DWORD dst_unused:UNUSED_PAD src0_sel:WORD_1 src1_sel:DWORD
	v_lshrrev_b32_e32 v55, 16, v32
	v_mul_f16_sdwa v63, v14, v52 dst_sel:DWORD dst_unused:UNUSED_PAD src0_sel:WORD_1 src1_sel:DWORD
	v_fma_f16 v67, v4, v17, v67
	v_fma_f16 v6, v6, v50, -v23
	v_mul_f16_sdwa v23, v14, v51 dst_sel:DWORD dst_unused:UNUSED_PAD src0_sel:WORD_1 src1_sel:DWORD
	v_mul_f16_sdwa v17, v4, v17 dst_sel:DWORD dst_unused:UNUSED_PAD src0_sel:WORD_1 src1_sel:DWORD
	v_fma_f16 v26, v1, v58, -v26
	v_mul_f16_sdwa v31, v9, v19 dst_sel:DWORD dst_unused:UNUSED_PAD src0_sel:WORD_1 src1_sel:DWORD
	v_fma_f16 v1, v1, v30, v22
	v_mul_f16_sdwa v22, v9, v53 dst_sel:DWORD dst_unused:UNUSED_PAD src0_sel:WORD_1 src1_sel:DWORD
	v_mul_f16_sdwa v58, v2, v32 dst_sel:DWORD dst_unused:UNUSED_PAD src0_sel:WORD_1 src1_sel:DWORD
	v_fma_f16 v63, v14, v51, v63
	v_mul_f16_sdwa v68, v12, v47 dst_sel:DWORD dst_unused:UNUSED_PAD src0_sel:WORD_1 src1_sel:DWORD
	v_fma_f16 v14, v14, v52, -v23
	v_mul_f16_sdwa v23, v2, v55 dst_sel:DWORD dst_unused:UNUSED_PAD src0_sel:WORD_1 src1_sel:DWORD
	v_fma_f16 v4, v4, v29, -v17
	;; [unrolled: 2-line block ×3, first 2 shown]
	v_fma_f16 v9, v9, v19, v22
	v_mul_f16_sdwa v22, v3, v16 dst_sel:DWORD dst_unused:UNUSED_PAD src0_sel:WORD_1 src1_sel:DWORD
	v_fma_f16 v58, v2, v55, -v58
	v_mul_f16_sdwa v61, v10, v20 dst_sel:DWORD dst_unused:UNUSED_PAD src0_sel:WORD_1 src1_sel:DWORD
	v_mul_f16_sdwa v65, v0, v27 dst_sel:DWORD dst_unused:UNUSED_PAD src0_sel:WORD_1 src1_sel:DWORD
	;; [unrolled: 1-line block ×3, first 2 shown]
	v_fma_f16 v68, v12, v24, v68
	v_fma_f16 v2, v2, v32, v23
	v_fma_f16 v12, v12, v47, -v17
	v_mul_f16_sdwa v17, v0, v57 dst_sel:DWORD dst_unused:UNUSED_PAD src0_sel:WORD_1 src1_sel:DWORD
	v_mul_f16_sdwa v32, v3, v56 dst_sel:DWORD dst_unused:UNUSED_PAD src0_sel:WORD_1 src1_sel:DWORD
	v_fma_f16 v22, v3, v56, -v22
	v_mul_f16_sdwa v25, v11, v21 dst_sel:DWORD dst_unused:UNUSED_PAD src0_sel:WORD_1 src1_sel:DWORD
	v_mul_f16_sdwa v30, v7, v48 dst_sel:DWORD dst_unused:UNUSED_PAD src0_sel:WORD_1 src1_sel:DWORD
	v_fma_f16 v61, v10, v46, -v61
	v_fma_f16 v65, v0, v57, -v65
	;; [unrolled: 1-line block ×3, first 2 shown]
	v_mul_f16_sdwa v23, v10, v46 dst_sel:DWORD dst_unused:UNUSED_PAD src0_sel:WORD_1 src1_sel:DWORD
	v_fma_f16 v0, v0, v27, v17
	v_mul_f16_sdwa v17, v8, v44 dst_sel:DWORD dst_unused:UNUSED_PAD src0_sel:WORD_1 src1_sel:DWORD
	v_mul_f16_sdwa v29, v7, v45 dst_sel:DWORD dst_unused:UNUSED_PAD src0_sel:WORD_1 src1_sel:DWORD
	v_fma_f16 v3, v3, v16, v32
	v_mul_f16_sdwa v16, v11, v49 dst_sel:DWORD dst_unused:UNUSED_PAD src0_sel:WORD_1 src1_sel:DWORD
	v_fma_f16 v25, v11, v49, -v25
	v_fma_f16 v30, v7, v45, v30
	v_sub_f16_e32 v61, v58, v61
	v_sub_f16_e32 v63, v62, v63
	v_sub_f16_e32 v66, v65, v66
	v_sub_f16_e32 v68, v67, v68
	v_fma_f16 v10, v10, v20, v23
	v_fma_f16 v8, v8, v18, v17
	v_fma_f16 v7, v7, v48, -v29
	v_lshrrev_b32_e32 v29, 16, v28
	v_fma_f16 v11, v11, v21, v16
	v_sub_f16_e32 v31, v26, v31
	v_sub_f16_e32 v59, v43, v59
	;; [unrolled: 1-line block ×15, first 2 shown]
	v_add_f16_e32 v19, v13, v9
	v_add_f16_e32 v53, v25, v30
	s_movk_i32 s2, 0x39a8
	v_add_f16_e32 v20, v14, v10
	s_mov_b32 s3, 0xb9a8
	v_add_f16_e32 v17, v12, v8
	v_sub_f16_e32 v16, v7, v11
	v_fma_f16 v52, v66, 2.0, -v69
	v_fma_f16 v55, v61, 2.0, -v64
	v_fma_f16 v70, v64, s2, v69
	v_fma_f16 v21, v60, s2, v16
	v_fma_f16 v26, v26, 2.0, -v31
	v_fma_f16 v5, v5, 2.0, -v13
	;; [unrolled: 1-line block ×12, first 2 shown]
	v_fma_f16 v56, v55, s3, v52
	v_fma_f16 v10, v10, 2.0, -v20
	v_fma_f16 v8, v8, 2.0, -v17
	v_fma_f16 v54, v19, s2, v53
	v_fma_f16 v23, v20, s3, v70
	v_fma_f16 v18, v20, s2, v17
	v_fma_f16 v21, v19, s3, v21
	v_sub_f16_e32 v5, v26, v5
	v_sub_f16_e32 v3, v13, v3
	v_fma_f16 v28, v65, 2.0, -v66
	v_fma_f16 v4, v4, 2.0, -v12
	;; [unrolled: 1-line block ×3, first 2 shown]
	v_sub_f16_e32 v6, v46, v6
	v_sub_f16_e32 v14, v0, v14
	v_fma_f16 v29, v29, 2.0, -v7
	v_fma_f16 v22, v22, 2.0, -v25
	;; [unrolled: 1-line block ×4, first 2 shown]
	v_fma_f16 v19, v9, s3, v30
	v_fma_f16 v20, v10, s3, v56
	;; [unrolled: 1-line block ×3, first 2 shown]
	v_fma_f16 v7, v7, 2.0, -v16
	v_fma_f16 v54, v60, s2, v54
	v_fma_f16 v18, v64, s2, v18
	s_movk_i32 s10, 0x3b64
	v_add_f16_e32 v11, v5, v3
	v_sub_f16_e32 v4, v28, v4
	v_sub_f16_e32 v12, v2, v12
	v_add_f16_e32 v47, v6, v14
	v_sub_f16_e32 v22, v29, v22
	v_sub_f16_e32 v25, v1, v25
	v_fma_f16 v19, v31, s2, v19
	v_fma_f16 v10, v55, s2, v10
	;; [unrolled: 1-line block ×5, first 2 shown]
	v_sub_f16_e32 v45, v4, v12
	v_fma_f16 v48, v47, s2, v11
	v_sub_f16_e32 v43, v22, v25
	v_fma_f16 v55, v10, s11, v19
	v_fma_f16 v9, v9, s3, v31
	v_fma_f16 v13, v13, 2.0, -v3
	v_fma_f16 v1, v1, 2.0, -v25
	;; [unrolled: 1-line block ×8, first 2 shown]
	v_fma_f16 v24, v23, s11, v24
	v_fma_f16 v32, v18, s12, v32
	;; [unrolled: 1-line block ×5, first 2 shown]
	s_mov_b32 s13, 0xbb64
	v_sub_f16_e32 v1, v13, v1
	v_sub_f16_e32 v6, v25, v6
	;; [unrolled: 1-line block ×4, first 2 shown]
	v_fma_f16 v23, v69, 2.0, -v23
	v_fma_f16 v16, v16, 2.0, -v21
	;; [unrolled: 1-line block ×5, first 2 shown]
	v_fma_f16 v31, v10, s13, v31
	v_add_f16_e32 v28, v1, v6
	v_sub_f16_e32 v12, v5, v2
	v_fma_f16 v53, v53, 2.0, -v54
	v_fma_f16 v17, v17, 2.0, -v18
	v_fma_f16 v21, v23, s12, v16
	v_fma_f16 v3, v3, 2.0, -v11
	v_fma_f16 v11, v14, 2.0, -v47
	;; [unrolled: 1-line block ×9, first 2 shown]
	v_fma_f16 v18, v17, s12, v53
	v_fma_f16 v17, v17, s13, v21
	v_fma_f16 v4, v4, 2.0, -v45
	v_fma_f16 v14, v11, s3, v3
	v_fma_f16 v21, v22, 2.0, -v43
	v_fma_f16 v10, v8, s13, v19
	v_fma_f16 v9, v20, s13, v7
	v_fma_f16 v1, v13, 2.0, -v1
	v_fma_f16 v0, v0, 2.0, -v2
	;; [unrolled: 1-line block ×4, first 2 shown]
	v_fma_f16 v14, v4, s2, v14
	v_fma_f16 v4, v4, s3, v21
	;; [unrolled: 1-line block ×4, first 2 shown]
	v_sub_f16_e32 v0, v1, v0
	v_sub_f16_e32 v5, v2, v5
	v_fma_f16 v18, v23, s10, v18
	v_fma_f16 v4, v11, s3, v4
	v_fma_f16 v19, v19, 2.0, -v10
	v_fma_f16 v7, v7, 2.0, -v8
	;; [unrolled: 1-line block ×4, first 2 shown]
	v_fma_f16 v50, v45, s2, v43
	v_fma_f16 v53, v53, 2.0, -v18
	v_fma_f16 v16, v16, 2.0, -v17
	;; [unrolled: 1-line block ×4, first 2 shown]
	v_pack_b32_f16 v1, v1, v2
	v_pack_b32_f16 v2, v19, v7
	v_fma_f16 v50, v47, s3, v50
	ds_write2_b32 v41, v1, v2 offset1:6
	v_pack_b32_f16 v1, v3, v11
	v_pack_b32_f16 v2, v53, v16
	v_fma_f16 v51, v43, 2.0, -v50
	ds_write2_b32 v41, v1, v2 offset0:12 offset1:18
	v_pack_b32_f16 v1, v46, v26
	v_fma_f16 v27, v54, 2.0, -v24
	ds_write_b32 v41, v1 offset:96
	v_pack_b32_f16 v1, v56, v57
	v_pack_b32_f16 v2, v49, v51
	ds_write2_b32 v36, v1, v2 offset0:30 offset1:36
	v_pack_b32_f16 v1, v27, v44
	v_pack_b32_f16 v0, v0, v5
	ds_write_b32 v36, v1 offset:168
	ds_write_b32 v42, v0 offset:192
	v_pack_b32_f16 v0, v10, v8
	v_pack_b32_f16 v1, v14, v4
	ds_write2_b32 v36, v0, v1 offset0:54 offset1:60
	v_pack_b32_f16 v0, v18, v17
	v_pack_b32_f16 v1, v28, v12
	ds_write2_b32 v36, v0, v1 offset0:66 offset1:72
	;; [unrolled: 3-line block ×3, first 2 shown]
	v_pack_b32_f16 v0, v24, v32
	ds_write_b32 v36, v0 offset:360
.LBB0_9:
	s_or_b64 exec, exec, s[0:1]
	s_waitcnt lgkmcnt(0)
	s_barrier
	ds_read2_b32 v[0:1], v41 offset1:16
	s_mov_b32 s2, 0x55555555
	s_mov_b32 s3, 0x3f855555
	v_mad_u64_u32 v[4:5], s[0:1], s6, v15, 0
	s_waitcnt lgkmcnt(0)
	v_lshrrev_b32_e32 v7, 16, v0
	v_mul_f16_sdwa v2, v40, v7 dst_sel:DWORD dst_unused:UNUSED_PAD src0_sel:WORD_1 src1_sel:DWORD
	v_fma_f16 v2, v40, v0, v2
	v_cvt_f32_f16_e32 v2, v2
	s_movk_i32 s6, 0x1ff
	v_mad_u64_u32 v[5:6], s[0:1], s7, v15, v[5:6]
	v_cvt_f64_f32_e32 v[2:3], v2
	s_movk_i32 s7, 0xffe
	v_mul_f16_sdwa v0, v40, v0 dst_sel:DWORD dst_unused:UNUSED_PAD src0_sel:WORD_1 src1_sel:DWORD
	v_fma_f16 v0, v40, v7, -v0
	v_mul_f64 v[2:3], v[2:3], s[2:3]
	v_cvt_f32_f16_e32 v7, v0
	v_mov_b32_e32 v0, 0x7c00
	s_movk_i32 s10, 0x40f
	s_mov_b32 s11, 0x8000
	v_lshrrev_b32_e32 v11, 16, v1
	v_and_or_b32 v2, v3, s6, v2
	v_cmp_ne_u32_e32 vcc, 0, v2
	v_lshrrev_b32_e32 v6, 8, v3
	v_bfe_u32 v8, v3, 20, 11
	v_cndmask_b32_e64 v2, 0, 1, vcc
	v_sub_u32_e32 v9, 0x3f1, v8
	v_and_or_b32 v2, v6, s7, v2
	v_or_b32_e32 v6, 0x1000, v2
	v_med3_i32 v9, v9, 0, 13
	v_lshrrev_b32_e32 v10, v9, v6
	v_lshlrev_b32_e32 v9, v9, v10
	v_cmp_ne_u32_e32 vcc, v9, v6
	v_cndmask_b32_e64 v6, 0, 1, vcc
	v_add_u32_e32 v8, 0xfffffc10, v8
	v_or_b32_e32 v6, v10, v6
	v_lshl_or_b32 v9, v8, 12, v2
	v_cmp_gt_i32_e32 vcc, 1, v8
	v_cndmask_b32_e32 v6, v9, v6, vcc
	v_and_b32_e32 v9, 7, v6
	v_cmp_lt_i32_e32 vcc, 5, v9
	v_cmp_eq_u32_e64 s[0:1], 3, v9
	v_lshrrev_b32_e32 v6, 2, v6
	s_or_b64 vcc, s[0:1], vcc
	v_addc_co_u32_e32 v9, vcc, 0, v6, vcc
	v_cvt_f64_f32_e32 v[6:7], v7
	v_cmp_gt_i32_e32 vcc, 31, v8
	v_cndmask_b32_e32 v9, v0, v9, vcc
	v_cmp_ne_u32_e32 vcc, 0, v2
	v_mul_f64 v[6:7], v[6:7], s[2:3]
	v_cndmask_b32_e64 v2, 0, 1, vcc
	v_lshl_or_b32 v2, v2, 9, v0
	v_cmp_eq_u32_e32 vcc, s10, v8
	v_cndmask_b32_e32 v2, v9, v2, vcc
	v_lshrrev_b32_e32 v3, 16, v3
	v_and_or_b32 v8, v3, s11, v2
	v_and_b32_e32 v8, 0xffff, v8
	v_and_or_b32 v2, v7, s6, v6
	v_cmp_ne_u32_e32 vcc, 0, v2
	v_cndmask_b32_e64 v2, 0, 1, vcc
	v_lshrrev_b32_e32 v3, 8, v7
	v_bfe_u32 v6, v7, 20, 11
	v_and_or_b32 v2, v3, s7, v2
	v_sub_u32_e32 v9, 0x3f1, v6
	v_or_b32_e32 v3, 0x1000, v2
	v_med3_i32 v9, v9, 0, 13
	v_lshrrev_b32_e32 v10, v9, v3
	v_lshlrev_b32_e32 v9, v9, v10
	v_cmp_ne_u32_e32 vcc, v9, v3
	v_cndmask_b32_e64 v3, 0, 1, vcc
	v_add_u32_e32 v6, 0xfffffc10, v6
	v_or_b32_e32 v3, v10, v3
	v_lshl_or_b32 v9, v6, 12, v2
	v_cmp_gt_i32_e32 vcc, 1, v6
	v_cndmask_b32_e32 v3, v9, v3, vcc
	v_and_b32_e32 v9, 7, v3
	v_cmp_lt_i32_e32 vcc, 5, v9
	v_cmp_eq_u32_e64 s[0:1], 3, v9
	v_lshrrev_b32_e32 v3, 2, v3
	s_or_b64 vcc, s[0:1], vcc
	v_addc_co_u32_e32 v3, vcc, 0, v3, vcc
	v_cmp_gt_i32_e32 vcc, 31, v6
	v_cndmask_b32_e32 v9, v0, v3, vcc
	v_cmp_ne_u32_e32 vcc, 0, v2
	v_cndmask_b32_e64 v2, 0, 1, vcc
	v_lshl_or_b32 v10, v2, 9, v0
	v_mad_u64_u32 v[2:3], s[0:1], s4, v39, 0
	v_cmp_eq_u32_e32 vcc, s10, v6
	v_cndmask_b32_e32 v9, v9, v10, vcc
	v_lshrrev_b32_e32 v10, 16, v7
	v_mad_u64_u32 v[6:7], s[0:1], s5, v39, v[3:4]
	v_mul_f16_sdwa v3, v38, v11 dst_sel:DWORD dst_unused:UNUSED_PAD src0_sel:WORD_1 src1_sel:DWORD
	v_fma_f16 v3, v38, v1, v3
	v_cvt_f32_f16_e32 v7, v3
	v_mov_b32_e32 v3, v6
	v_lshlrev_b64 v[4:5], 2, v[4:5]
	v_and_or_b32 v9, v10, s11, v9
	v_cvt_f64_f32_e32 v[6:7], v7
	v_lshl_or_b32 v8, v9, 16, v8
	v_mov_b32_e32 v9, s9
	v_add_co_u32_e32 v4, vcc, s8, v4
	v_mul_f64 v[6:7], v[6:7], s[2:3]
	v_lshlrev_b64 v[2:3], 2, v[2:3]
	v_addc_co_u32_e32 v5, vcc, v9, v5, vcc
	v_add_co_u32_e32 v2, vcc, v4, v2
	v_addc_co_u32_e32 v3, vcc, v5, v3, vcc
	v_and_or_b32 v4, v7, s6, v6
	v_cmp_ne_u32_e32 vcc, 0, v4
	v_cndmask_b32_e64 v4, 0, 1, vcc
	v_lshrrev_b32_e32 v5, 8, v7
	v_and_or_b32 v6, v5, s7, v4
	v_bfe_u32 v5, v7, 20, 11
	global_store_dword v[2:3], v8, off
	v_sub_u32_e32 v8, 0x3f1, v5
	v_or_b32_e32 v4, 0x1000, v6
	v_med3_i32 v8, v8, 0, 13
	v_lshrrev_b32_e32 v9, v8, v4
	v_lshlrev_b32_e32 v8, v8, v9
	v_mul_f16_sdwa v1, v38, v1 dst_sel:DWORD dst_unused:UNUSED_PAD src0_sel:WORD_1 src1_sel:DWORD
	v_cmp_ne_u32_e32 vcc, v8, v4
	v_fma_f16 v1, v38, v11, -v1
	v_cndmask_b32_e64 v4, 0, 1, vcc
	v_add_u32_e32 v8, 0xfffffc10, v5
	v_cvt_f32_f16_e32 v1, v1
	v_or_b32_e32 v4, v9, v4
	v_lshl_or_b32 v5, v8, 12, v6
	v_cmp_gt_i32_e32 vcc, 1, v8
	v_cndmask_b32_e32 v4, v5, v4, vcc
	v_and_b32_e32 v5, 7, v4
	v_cmp_lt_i32_e32 vcc, 5, v5
	v_cmp_eq_u32_e64 s[0:1], 3, v5
	v_lshrrev_b32_e32 v9, 2, v4
	v_cvt_f64_f32_e32 v[4:5], v1
	s_or_b64 vcc, s[0:1], vcc
	v_addc_co_u32_e32 v1, vcc, 0, v9, vcc
	v_mul_f64 v[4:5], v[4:5], s[2:3]
	v_cmp_gt_i32_e32 vcc, 31, v8
	v_cndmask_b32_e32 v1, v0, v1, vcc
	v_cmp_ne_u32_e32 vcc, 0, v6
	v_cndmask_b32_e64 v6, 0, 1, vcc
	v_lshl_or_b32 v6, v6, 9, v0
	v_cmp_eq_u32_e32 vcc, s10, v8
	v_cndmask_b32_e32 v1, v1, v6, vcc
	v_and_or_b32 v4, v5, s6, v4
	v_lshrrev_b32_e32 v6, 16, v7
	v_cmp_ne_u32_e32 vcc, 0, v4
	v_and_or_b32 v1, v6, s11, v1
	v_cndmask_b32_e64 v4, 0, 1, vcc
	v_lshrrev_b32_e32 v6, 8, v5
	v_bfe_u32 v7, v5, 20, 11
	v_and_or_b32 v4, v6, s7, v4
	v_sub_u32_e32 v8, 0x3f1, v7
	v_or_b32_e32 v6, 0x1000, v4
	v_med3_i32 v8, v8, 0, 13
	v_lshrrev_b32_e32 v9, v8, v6
	v_lshlrev_b32_e32 v8, v8, v9
	v_cmp_ne_u32_e32 vcc, v8, v6
	v_cndmask_b32_e64 v6, 0, 1, vcc
	v_add_u32_e32 v8, 0xfffffc10, v7
	v_or_b32_e32 v6, v9, v6
	v_lshl_or_b32 v7, v8, 12, v4
	v_cmp_gt_i32_e32 vcc, 1, v8
	v_cndmask_b32_e32 v6, v7, v6, vcc
	v_and_b32_e32 v7, 7, v6
	v_cmp_lt_i32_e32 vcc, 5, v7
	v_cmp_eq_u32_e64 s[0:1], 3, v7
	v_lshrrev_b32_e32 v6, 2, v6
	s_or_b64 vcc, s[0:1], vcc
	v_addc_co_u32_e32 v9, vcc, 0, v6, vcc
	ds_read2_b32 v[6:7], v36 offset0:32 offset1:64
	v_cmp_gt_i32_e32 vcc, 31, v8
	v_cndmask_b32_e32 v9, v0, v9, vcc
	v_cmp_ne_u32_e32 vcc, 0, v4
	v_cndmask_b32_e64 v4, 0, 1, vcc
	s_waitcnt lgkmcnt(0)
	v_lshrrev_b32_e32 v10, 16, v6
	v_mul_f16_sdwa v11, v37, v10 dst_sel:DWORD dst_unused:UNUSED_PAD src0_sel:WORD_1 src1_sel:DWORD
	v_fma_f16 v11, v37, v6, v11
	v_cvt_f32_f16_e32 v11, v11
	v_lshl_or_b32 v4, v4, 9, v0
	v_cmp_eq_u32_e32 vcc, s10, v8
	v_cndmask_b32_e32 v8, v9, v4, vcc
	v_lshrrev_b32_e32 v9, 16, v5
	v_cvt_f64_f32_e32 v[4:5], v11
	v_and_or_b32 v8, v9, s11, v8
	v_and_b32_e32 v1, 0xffff, v1
	s_lshl_b64 s[4:5], s[4:5], 6
	v_mul_f64 v[4:5], v[4:5], s[2:3]
	v_lshl_or_b32 v8, v8, 16, v1
	v_mov_b32_e32 v1, s5
	v_add_co_u32_e32 v2, vcc, s4, v2
	v_addc_co_u32_e32 v3, vcc, v3, v1, vcc
	global_store_dword v[2:3], v8, off
	v_and_or_b32 v4, v5, s6, v4
	v_cmp_ne_u32_e32 vcc, 0, v4
	v_cndmask_b32_e64 v4, 0, 1, vcc
	v_lshrrev_b32_e32 v8, 8, v5
	v_bfe_u32 v9, v5, 20, 11
	v_and_or_b32 v4, v8, s7, v4
	v_sub_u32_e32 v11, 0x3f1, v9
	v_or_b32_e32 v8, 0x1000, v4
	v_med3_i32 v11, v11, 0, 13
	v_lshrrev_b32_e32 v12, v11, v8
	v_lshlrev_b32_e32 v11, v11, v12
	v_mul_f16_sdwa v6, v37, v6 dst_sel:DWORD dst_unused:UNUSED_PAD src0_sel:WORD_1 src1_sel:DWORD
	v_cmp_ne_u32_e32 vcc, v11, v8
	v_fma_f16 v6, v37, v10, -v6
	v_cndmask_b32_e64 v8, 0, 1, vcc
	v_add_u32_e32 v11, 0xfffffc10, v9
	v_cvt_f32_f16_e32 v6, v6
	v_or_b32_e32 v8, v12, v8
	v_lshl_or_b32 v9, v11, 12, v4
	v_cmp_gt_i32_e32 vcc, 1, v11
	v_cndmask_b32_e32 v8, v9, v8, vcc
	v_and_b32_e32 v9, 7, v8
	v_cmp_lt_i32_e32 vcc, 5, v9
	v_cmp_eq_u32_e64 s[0:1], 3, v9
	v_lshrrev_b32_e32 v10, 2, v8
	v_cvt_f64_f32_e32 v[8:9], v6
	s_or_b64 vcc, s[0:1], vcc
	v_addc_co_u32_e32 v6, vcc, 0, v10, vcc
	v_mul_f64 v[8:9], v[8:9], s[2:3]
	v_cmp_gt_i32_e32 vcc, 31, v11
	v_cndmask_b32_e32 v6, v0, v6, vcc
	v_cmp_ne_u32_e32 vcc, 0, v4
	v_cndmask_b32_e64 v4, 0, 1, vcc
	v_lshl_or_b32 v4, v4, 9, v0
	v_cmp_eq_u32_e32 vcc, s10, v11
	v_cndmask_b32_e32 v4, v6, v4, vcc
	v_lshrrev_b32_e32 v5, 16, v5
	v_and_or_b32 v6, v5, s11, v4
	v_and_or_b32 v4, v9, s6, v8
	v_cmp_ne_u32_e32 vcc, 0, v4
	v_cndmask_b32_e64 v4, 0, 1, vcc
	v_lshrrev_b32_e32 v5, 8, v9
	v_bfe_u32 v8, v9, 20, 11
	v_and_or_b32 v4, v5, s7, v4
	v_sub_u32_e32 v10, 0x3f1, v8
	v_or_b32_e32 v5, 0x1000, v4
	v_med3_i32 v10, v10, 0, 13
	v_lshrrev_b32_e32 v11, v10, v5
	v_lshlrev_b32_e32 v10, v10, v11
	v_cmp_ne_u32_e32 vcc, v10, v5
	v_cndmask_b32_e64 v5, 0, 1, vcc
	v_add_u32_e32 v8, 0xfffffc10, v8
	v_or_b32_e32 v5, v11, v5
	v_lshl_or_b32 v10, v8, 12, v4
	v_cmp_gt_i32_e32 vcc, 1, v8
	v_cndmask_b32_e32 v5, v10, v5, vcc
	v_and_b32_e32 v10, 7, v5
	v_cmp_lt_i32_e32 vcc, 5, v10
	v_cmp_eq_u32_e64 s[0:1], 3, v10
	ds_read_b32 v10, v42 offset:192
	ds_read_b32 v12, v36 offset:320
	v_lshrrev_b32_e32 v5, 2, v5
	s_or_b64 vcc, s[0:1], vcc
	v_addc_co_u32_e32 v5, vcc, 0, v5, vcc
	v_cmp_gt_i32_e32 vcc, 31, v8
	s_waitcnt lgkmcnt(1)
	v_lshrrev_b32_e32 v13, 16, v10
	v_cndmask_b32_e32 v11, v0, v5, vcc
	v_mul_f16_sdwa v5, v35, v13 dst_sel:DWORD dst_unused:UNUSED_PAD src0_sel:WORD_1 src1_sel:DWORD
	v_fma_f16 v5, v35, v10, v5
	v_cvt_f32_f16_e32 v5, v5
	v_cmp_ne_u32_e32 vcc, 0, v4
	v_cndmask_b32_e64 v4, 0, 1, vcc
	v_lshl_or_b32 v14, v4, 9, v0
	v_cvt_f64_f32_e32 v[4:5], v5
	v_cmp_eq_u32_e32 vcc, s10, v8
	v_cndmask_b32_e32 v8, v11, v14, vcc
	v_lshrrev_b32_e32 v9, 16, v9
	v_mul_f64 v[4:5], v[4:5], s[2:3]
	v_add_co_u32_e32 v2, vcc, s4, v2
	v_and_or_b32 v8, v9, s11, v8
	v_and_b32_e32 v6, 0xffff, v6
	v_addc_co_u32_e32 v3, vcc, v3, v1, vcc
	v_lshl_or_b32 v6, v8, 16, v6
	v_and_or_b32 v4, v5, s6, v4
	v_cmp_ne_u32_e32 vcc, 0, v4
	global_store_dword v[2:3], v6, off
	v_cndmask_b32_e64 v4, 0, 1, vcc
	v_lshrrev_b32_e32 v6, 8, v5
	v_bfe_u32 v8, v5, 20, 11
	v_and_or_b32 v4, v6, s7, v4
	v_sub_u32_e32 v9, 0x3f1, v8
	v_or_b32_e32 v6, 0x1000, v4
	v_med3_i32 v9, v9, 0, 13
	v_lshrrev_b32_e32 v11, v9, v6
	v_lshlrev_b32_e32 v9, v9, v11
	v_cmp_ne_u32_e32 vcc, v9, v6
	v_mul_f16_sdwa v9, v35, v10 dst_sel:DWORD dst_unused:UNUSED_PAD src0_sel:WORD_1 src1_sel:DWORD
	v_cndmask_b32_e64 v6, 0, 1, vcc
	v_fma_f16 v9, v35, v13, -v9
	v_or_b32_e32 v6, v11, v6
	v_add_u32_e32 v11, 0xfffffc10, v8
	v_cvt_f32_f16_e32 v9, v9
	v_lshl_or_b32 v8, v11, 12, v4
	v_cmp_gt_i32_e32 vcc, 1, v11
	v_cndmask_b32_e32 v6, v8, v6, vcc
	v_and_b32_e32 v8, 7, v6
	v_cmp_lt_i32_e32 vcc, 5, v8
	v_cmp_eq_u32_e64 s[0:1], 3, v8
	v_cvt_f64_f32_e32 v[8:9], v9
	v_lshrrev_b32_e32 v6, 2, v6
	s_or_b64 vcc, s[0:1], vcc
	v_addc_co_u32_e32 v6, vcc, 0, v6, vcc
	v_mul_f64 v[8:9], v[8:9], s[2:3]
	v_cmp_gt_i32_e32 vcc, 31, v11
	v_cndmask_b32_e32 v6, v0, v6, vcc
	v_cmp_ne_u32_e32 vcc, 0, v4
	v_cndmask_b32_e64 v4, 0, 1, vcc
	v_lshl_or_b32 v4, v4, 9, v0
	v_cmp_eq_u32_e32 vcc, s10, v11
	v_cndmask_b32_e32 v4, v6, v4, vcc
	v_lshrrev_b32_e32 v5, 16, v5
	v_and_or_b32 v6, v5, s11, v4
	v_and_or_b32 v4, v9, s6, v8
	v_cmp_ne_u32_e32 vcc, 0, v4
	v_cndmask_b32_e64 v4, 0, 1, vcc
	v_lshrrev_b32_e32 v5, 8, v9
	v_bfe_u32 v8, v9, 20, 11
	v_and_or_b32 v4, v5, s7, v4
	v_sub_u32_e32 v10, 0x3f1, v8
	v_or_b32_e32 v5, 0x1000, v4
	v_med3_i32 v10, v10, 0, 13
	v_lshrrev_b32_e32 v11, v10, v5
	v_lshlrev_b32_e32 v10, v10, v11
	v_cmp_ne_u32_e32 vcc, v10, v5
	v_cndmask_b32_e64 v5, 0, 1, vcc
	v_add_u32_e32 v8, 0xfffffc10, v8
	v_or_b32_e32 v5, v11, v5
	v_lshl_or_b32 v10, v8, 12, v4
	v_cmp_gt_i32_e32 vcc, 1, v8
	v_cndmask_b32_e32 v5, v10, v5, vcc
	v_and_b32_e32 v10, 7, v5
	v_cmp_lt_i32_e32 vcc, 5, v10
	v_cmp_eq_u32_e64 s[0:1], 3, v10
	v_lshrrev_b32_e32 v5, 2, v5
	s_or_b64 vcc, s[0:1], vcc
	v_addc_co_u32_e32 v5, vcc, 0, v5, vcc
	v_cmp_gt_i32_e32 vcc, 31, v8
	v_lshrrev_b32_e32 v11, 16, v7
	v_cndmask_b32_e32 v10, v0, v5, vcc
	v_mul_f16_sdwa v5, v34, v11 dst_sel:DWORD dst_unused:UNUSED_PAD src0_sel:WORD_1 src1_sel:DWORD
	v_fma_f16 v5, v34, v7, v5
	v_cvt_f32_f16_e32 v5, v5
	v_cmp_ne_u32_e32 vcc, 0, v4
	v_cndmask_b32_e64 v4, 0, 1, vcc
	v_lshl_or_b32 v13, v4, 9, v0
	v_cvt_f64_f32_e32 v[4:5], v5
	v_cmp_eq_u32_e32 vcc, s10, v8
	v_cndmask_b32_e32 v8, v10, v13, vcc
	v_lshrrev_b32_e32 v9, 16, v9
	v_mul_f64 v[4:5], v[4:5], s[2:3]
	v_add_co_u32_e32 v2, vcc, s4, v2
	v_and_or_b32 v8, v9, s11, v8
	v_and_b32_e32 v6, 0xffff, v6
	v_addc_co_u32_e32 v3, vcc, v3, v1, vcc
	v_lshl_or_b32 v6, v8, 16, v6
	v_and_or_b32 v4, v5, s6, v4
	v_cmp_ne_u32_e32 vcc, 0, v4
	global_store_dword v[2:3], v6, off
	v_cndmask_b32_e64 v4, 0, 1, vcc
	v_lshrrev_b32_e32 v6, 8, v5
	v_bfe_u32 v8, v5, 20, 11
	v_and_or_b32 v4, v6, s7, v4
	v_sub_u32_e32 v9, 0x3f1, v8
	v_or_b32_e32 v6, 0x1000, v4
	v_med3_i32 v9, v9, 0, 13
	v_lshrrev_b32_e32 v10, v9, v6
	v_lshlrev_b32_e32 v9, v9, v10
	v_mul_f16_sdwa v7, v34, v7 dst_sel:DWORD dst_unused:UNUSED_PAD src0_sel:WORD_1 src1_sel:DWORD
	v_cmp_ne_u32_e32 vcc, v9, v6
	v_fma_f16 v7, v34, v11, -v7
	v_cndmask_b32_e64 v6, 0, 1, vcc
	v_add_u32_e32 v8, 0xfffffc10, v8
	v_cvt_f32_f16_e32 v7, v7
	v_or_b32_e32 v6, v10, v6
	v_lshl_or_b32 v9, v8, 12, v4
	v_cmp_gt_i32_e32 vcc, 1, v8
	v_cndmask_b32_e32 v6, v9, v6, vcc
	v_and_b32_e32 v9, 7, v6
	v_cmp_lt_i32_e32 vcc, 5, v9
	v_cmp_eq_u32_e64 s[0:1], 3, v9
	v_lshrrev_b32_e32 v9, 2, v6
	v_cvt_f64_f32_e32 v[6:7], v7
	s_or_b64 vcc, s[0:1], vcc
	v_addc_co_u32_e32 v9, vcc, 0, v9, vcc
	v_mul_f64 v[6:7], v[6:7], s[2:3]
	v_cmp_gt_i32_e32 vcc, 31, v8
	v_cndmask_b32_e32 v9, v0, v9, vcc
	v_cmp_ne_u32_e32 vcc, 0, v4
	v_cndmask_b32_e64 v4, 0, 1, vcc
	v_lshl_or_b32 v4, v4, 9, v0
	v_cmp_eq_u32_e32 vcc, s10, v8
	v_cndmask_b32_e32 v4, v9, v4, vcc
	v_lshrrev_b32_e32 v5, 16, v5
	v_and_or_b32 v8, v5, s11, v4
	v_and_or_b32 v4, v7, s6, v6
	v_cmp_ne_u32_e32 vcc, 0, v4
	v_cndmask_b32_e64 v4, 0, 1, vcc
	v_lshrrev_b32_e32 v5, 8, v7
	v_bfe_u32 v6, v7, 20, 11
	v_and_or_b32 v4, v5, s7, v4
	v_sub_u32_e32 v9, 0x3f1, v6
	v_or_b32_e32 v5, 0x1000, v4
	v_med3_i32 v9, v9, 0, 13
	v_lshrrev_b32_e32 v10, v9, v5
	v_lshlrev_b32_e32 v9, v9, v10
	v_cmp_ne_u32_e32 vcc, v9, v5
	v_cndmask_b32_e64 v5, 0, 1, vcc
	v_add_u32_e32 v6, 0xfffffc10, v6
	v_or_b32_e32 v5, v10, v5
	v_lshl_or_b32 v9, v6, 12, v4
	v_cmp_gt_i32_e32 vcc, 1, v6
	v_cndmask_b32_e32 v5, v9, v5, vcc
	v_and_b32_e32 v9, 7, v5
	v_cmp_lt_i32_e32 vcc, 5, v9
	v_cmp_eq_u32_e64 s[0:1], 3, v9
	v_lshrrev_b32_e32 v5, 2, v5
	s_or_b64 vcc, s[0:1], vcc
	v_addc_co_u32_e32 v5, vcc, 0, v5, vcc
	v_cmp_gt_i32_e32 vcc, 31, v6
	s_waitcnt lgkmcnt(0)
	v_lshrrev_b32_e32 v10, 16, v12
	v_cndmask_b32_e32 v9, v0, v5, vcc
	v_mul_f16_sdwa v5, v33, v10 dst_sel:DWORD dst_unused:UNUSED_PAD src0_sel:WORD_1 src1_sel:DWORD
	v_fma_f16 v5, v33, v12, v5
	v_cvt_f32_f16_e32 v5, v5
	v_cmp_ne_u32_e32 vcc, 0, v4
	v_cndmask_b32_e64 v4, 0, 1, vcc
	v_lshl_or_b32 v11, v4, 9, v0
	v_cvt_f64_f32_e32 v[4:5], v5
	v_cmp_eq_u32_e32 vcc, s10, v6
	v_cndmask_b32_e32 v6, v9, v11, vcc
	v_lshrrev_b32_e32 v7, 16, v7
	v_mul_f64 v[4:5], v[4:5], s[2:3]
	v_add_co_u32_e32 v2, vcc, s4, v2
	v_and_or_b32 v6, v7, s11, v6
	v_and_b32_e32 v7, 0xffff, v8
	v_addc_co_u32_e32 v3, vcc, v3, v1, vcc
	v_lshl_or_b32 v6, v6, 16, v7
	v_and_or_b32 v4, v5, s6, v4
	v_cmp_ne_u32_e32 vcc, 0, v4
	global_store_dword v[2:3], v6, off
	v_cndmask_b32_e64 v4, 0, 1, vcc
	v_lshrrev_b32_e32 v6, 8, v5
	v_bfe_u32 v7, v5, 20, 11
	v_and_or_b32 v4, v6, s7, v4
	v_sub_u32_e32 v8, 0x3f1, v7
	v_or_b32_e32 v6, 0x1000, v4
	v_med3_i32 v8, v8, 0, 13
	v_lshrrev_b32_e32 v9, v8, v6
	v_lshlrev_b32_e32 v8, v8, v9
	v_cmp_ne_u32_e32 vcc, v8, v6
	v_cndmask_b32_e64 v6, 0, 1, vcc
	v_or_b32_e32 v6, v9, v6
	v_mul_f16_sdwa v9, v33, v12 dst_sel:DWORD dst_unused:UNUSED_PAD src0_sel:WORD_1 src1_sel:DWORD
	v_fma_f16 v9, v33, v10, -v9
	v_add_u32_e32 v8, 0xfffffc10, v7
	v_cvt_f32_f16_e32 v9, v9
	v_lshl_or_b32 v7, v8, 12, v4
	v_cmp_gt_i32_e32 vcc, 1, v8
	v_cndmask_b32_e32 v6, v7, v6, vcc
	v_and_b32_e32 v7, 7, v6
	v_cmp_lt_i32_e32 vcc, 5, v7
	v_cmp_eq_u32_e64 s[0:1], 3, v7
	v_lshrrev_b32_e32 v10, 2, v6
	v_cvt_f64_f32_e32 v[6:7], v9
	s_or_b64 vcc, s[0:1], vcc
	v_addc_co_u32_e32 v9, vcc, 0, v10, vcc
	v_mul_f64 v[6:7], v[6:7], s[2:3]
	v_cmp_gt_i32_e32 vcc, 31, v8
	v_cndmask_b32_e32 v9, v0, v9, vcc
	v_cmp_ne_u32_e32 vcc, 0, v4
	v_cndmask_b32_e64 v4, 0, 1, vcc
	v_lshl_or_b32 v4, v4, 9, v0
	v_cmp_eq_u32_e32 vcc, s10, v8
	v_cndmask_b32_e32 v4, v9, v4, vcc
	v_lshrrev_b32_e32 v5, 16, v5
	v_and_or_b32 v4, v5, s11, v4
	v_and_or_b32 v5, v7, s6, v6
	v_cmp_ne_u32_e32 vcc, 0, v5
	v_cndmask_b32_e64 v5, 0, 1, vcc
	v_lshrrev_b32_e32 v6, 8, v7
	v_bfe_u32 v8, v7, 20, 11
	v_and_or_b32 v5, v6, s7, v5
	v_sub_u32_e32 v9, 0x3f1, v8
	v_or_b32_e32 v6, 0x1000, v5
	v_med3_i32 v9, v9, 0, 13
	v_lshrrev_b32_e32 v10, v9, v6
	v_lshlrev_b32_e32 v9, v9, v10
	v_cmp_ne_u32_e32 vcc, v9, v6
	v_cndmask_b32_e64 v6, 0, 1, vcc
	v_add_u32_e32 v8, 0xfffffc10, v8
	v_or_b32_e32 v6, v10, v6
	v_lshl_or_b32 v9, v8, 12, v5
	v_cmp_gt_i32_e32 vcc, 1, v8
	v_cndmask_b32_e32 v6, v9, v6, vcc
	v_and_b32_e32 v9, 7, v6
	v_cmp_lt_i32_e32 vcc, 5, v9
	v_cmp_eq_u32_e64 s[0:1], 3, v9
	v_lshrrev_b32_e32 v6, 2, v6
	s_or_b64 vcc, s[0:1], vcc
	v_addc_co_u32_e32 v6, vcc, 0, v6, vcc
	v_cmp_gt_i32_e32 vcc, 31, v8
	v_cndmask_b32_e32 v6, v0, v6, vcc
	v_cmp_ne_u32_e32 vcc, 0, v5
	v_cndmask_b32_e64 v5, 0, 1, vcc
	v_lshl_or_b32 v0, v5, 9, v0
	v_cmp_eq_u32_e32 vcc, s10, v8
	v_cndmask_b32_e32 v0, v6, v0, vcc
	v_lshrrev_b32_e32 v5, 16, v7
	v_and_or_b32 v0, v5, s11, v0
	v_and_b32_e32 v4, 0xffff, v4
	v_lshl_or_b32 v4, v0, 16, v4
	v_add_co_u32_e32 v0, vcc, s4, v2
	v_addc_co_u32_e32 v1, vcc, v3, v1, vcc
	global_store_dword v[0:1], v4, off
.LBB0_10:
	s_endpgm
	.section	.rodata,"a",@progbits
	.p2align	6, 0x0
	.amdhsa_kernel bluestein_single_fwd_len96_dim1_half_op_CI_CI
		.amdhsa_group_segment_fixed_size 3072
		.amdhsa_private_segment_fixed_size 0
		.amdhsa_kernarg_size 104
		.amdhsa_user_sgpr_count 6
		.amdhsa_user_sgpr_private_segment_buffer 1
		.amdhsa_user_sgpr_dispatch_ptr 0
		.amdhsa_user_sgpr_queue_ptr 0
		.amdhsa_user_sgpr_kernarg_segment_ptr 1
		.amdhsa_user_sgpr_dispatch_id 0
		.amdhsa_user_sgpr_flat_scratch_init 0
		.amdhsa_user_sgpr_private_segment_size 0
		.amdhsa_uses_dynamic_stack 0
		.amdhsa_system_sgpr_private_segment_wavefront_offset 0
		.amdhsa_system_sgpr_workgroup_id_x 1
		.amdhsa_system_sgpr_workgroup_id_y 0
		.amdhsa_system_sgpr_workgroup_id_z 0
		.amdhsa_system_sgpr_workgroup_info 0
		.amdhsa_system_vgpr_workitem_id 0
		.amdhsa_next_free_vgpr 76
		.amdhsa_next_free_sgpr 20
		.amdhsa_reserve_vcc 1
		.amdhsa_reserve_flat_scratch 0
		.amdhsa_float_round_mode_32 0
		.amdhsa_float_round_mode_16_64 0
		.amdhsa_float_denorm_mode_32 3
		.amdhsa_float_denorm_mode_16_64 3
		.amdhsa_dx10_clamp 1
		.amdhsa_ieee_mode 1
		.amdhsa_fp16_overflow 0
		.amdhsa_exception_fp_ieee_invalid_op 0
		.amdhsa_exception_fp_denorm_src 0
		.amdhsa_exception_fp_ieee_div_zero 0
		.amdhsa_exception_fp_ieee_overflow 0
		.amdhsa_exception_fp_ieee_underflow 0
		.amdhsa_exception_fp_ieee_inexact 0
		.amdhsa_exception_int_div_zero 0
	.end_amdhsa_kernel
	.text
.Lfunc_end0:
	.size	bluestein_single_fwd_len96_dim1_half_op_CI_CI, .Lfunc_end0-bluestein_single_fwd_len96_dim1_half_op_CI_CI
                                        ; -- End function
	.section	.AMDGPU.csdata,"",@progbits
; Kernel info:
; codeLenInByte = 8856
; NumSgprs: 24
; NumVgprs: 76
; ScratchSize: 0
; MemoryBound: 0
; FloatMode: 240
; IeeeMode: 1
; LDSByteSize: 3072 bytes/workgroup (compile time only)
; SGPRBlocks: 2
; VGPRBlocks: 18
; NumSGPRsForWavesPerEU: 24
; NumVGPRsForWavesPerEU: 76
; Occupancy: 3
; WaveLimiterHint : 1
; COMPUTE_PGM_RSRC2:SCRATCH_EN: 0
; COMPUTE_PGM_RSRC2:USER_SGPR: 6
; COMPUTE_PGM_RSRC2:TRAP_HANDLER: 0
; COMPUTE_PGM_RSRC2:TGID_X_EN: 1
; COMPUTE_PGM_RSRC2:TGID_Y_EN: 0
; COMPUTE_PGM_RSRC2:TGID_Z_EN: 0
; COMPUTE_PGM_RSRC2:TIDIG_COMP_CNT: 0
	.type	__hip_cuid_a5c1590ce713198c,@object ; @__hip_cuid_a5c1590ce713198c
	.section	.bss,"aw",@nobits
	.globl	__hip_cuid_a5c1590ce713198c
__hip_cuid_a5c1590ce713198c:
	.byte	0                               ; 0x0
	.size	__hip_cuid_a5c1590ce713198c, 1

	.ident	"AMD clang version 19.0.0git (https://github.com/RadeonOpenCompute/llvm-project roc-6.4.0 25133 c7fe45cf4b819c5991fe208aaa96edf142730f1d)"
	.section	".note.GNU-stack","",@progbits
	.addrsig
	.addrsig_sym __hip_cuid_a5c1590ce713198c
	.amdgpu_metadata
---
amdhsa.kernels:
  - .args:
      - .actual_access:  read_only
        .address_space:  global
        .offset:         0
        .size:           8
        .value_kind:     global_buffer
      - .actual_access:  read_only
        .address_space:  global
        .offset:         8
        .size:           8
        .value_kind:     global_buffer
      - .actual_access:  read_only
        .address_space:  global
        .offset:         16
        .size:           8
        .value_kind:     global_buffer
      - .actual_access:  read_only
        .address_space:  global
        .offset:         24
        .size:           8
        .value_kind:     global_buffer
      - .actual_access:  read_only
        .address_space:  global
        .offset:         32
        .size:           8
        .value_kind:     global_buffer
      - .offset:         40
        .size:           8
        .value_kind:     by_value
      - .address_space:  global
        .offset:         48
        .size:           8
        .value_kind:     global_buffer
      - .address_space:  global
        .offset:         56
        .size:           8
        .value_kind:     global_buffer
      - .address_space:  global
        .offset:         64
        .size:           8
        .value_kind:     global_buffer
      - .address_space:  global
        .offset:         72
        .size:           8
        .value_kind:     global_buffer
      - .offset:         80
        .size:           4
        .value_kind:     by_value
      - .address_space:  global
        .offset:         88
        .size:           8
        .value_kind:     global_buffer
      - .address_space:  global
        .offset:         96
        .size:           8
        .value_kind:     global_buffer
    .group_segment_fixed_size: 3072
    .kernarg_segment_align: 8
    .kernarg_segment_size: 104
    .language:       OpenCL C
    .language_version:
      - 2
      - 0
    .max_flat_workgroup_size: 128
    .name:           bluestein_single_fwd_len96_dim1_half_op_CI_CI
    .private_segment_fixed_size: 0
    .sgpr_count:     24
    .sgpr_spill_count: 0
    .symbol:         bluestein_single_fwd_len96_dim1_half_op_CI_CI.kd
    .uniform_work_group_size: 1
    .uses_dynamic_stack: false
    .vgpr_count:     76
    .vgpr_spill_count: 0
    .wavefront_size: 64
amdhsa.target:   amdgcn-amd-amdhsa--gfx906
amdhsa.version:
  - 1
  - 2
...

	.end_amdgpu_metadata
